;; amdgpu-corpus repo=vllm-project/vllm kind=triton arch=gfx950 opt=O3 lang=triton
	.amdgcn_target "amdgcn-amd-amdhsa--gfx950"
	.amdhsa_code_object_version 5
	.text
	.globl	_per_token_group_quant_fp8      ; -- Begin function _per_token_group_quant_fp8
	.p2align	8
	.type	_per_token_group_quant_fp8,@function
_per_token_group_quant_fp8:             ; @_per_token_group_quant_fp8
.Lfunc_begin0:
	.cfi_sections .debug_frame
	.cfi_startproc
; %bb.9:
	.file	1 "/root/src/amdgpu-assembly/repos/vllm-project__vllm/triton_aot_kernels" "fp8_utils_aot.py"
	.loc	1 8 0 prologue_end              ; fp8_utils_aot.py:8:0
	s_load_dwordx2 s[2:3], s[0:1], 0x0
	s_load_dwordx8 s[4:11], s[0:1], 0x8
	s_load_dwordx4 s[12:15], s[0:1], 0x28
	s_waitcnt lgkmcnt(0)
	s_branch .LBB0_0
	.loc	1 0 0 is_stmt 0                 ; :0:0
.Ltmp0:
	.p2align	8
; %bb.10:
.LBB0_0:
.Ltmp1:
	.loc	1 8 0 is_stmt 1                 ; fp8_utils_aot.py:8
	s_setreg_imm32_b32 hwreg(HW_REG_MODE, 23, 1), 1
	.loc	1 30 38                         ; fp8_utils_aot.py:30:38
	s_abs_i32 s0, s8
	v_cvt_f32_u32_e32 v1, s0
	s_sub_i32 s12, 0, s0
	s_xor_b32 s1, s9, s8
	s_abs_i32 s9, s9
	v_rcp_iflag_f32_e32 v1, v1
	s_ashr_i32 s1, s1, 31
	.loc	1 50 16                         ; fp8_utils_aot.py:50:16
	v_bfrev_b32_e32 v4, 1
	.loc	1 30 38                         ; fp8_utils_aot.py:30:38
	v_mul_f32_e32 v1, 0x4f7ffffe, v1
	v_cvt_u32_f32_e32 v1, v1
	s_nop 0
	v_readfirstlane_b32 s13, v1
	s_mul_i32 s12, s12, s13
	s_mul_hi_u32 s12, s13, s12
	s_add_i32 s13, s13, s12
	s_mul_hi_u32 s12, s9, s13
	s_mul_i32 s13, s12, s0
	s_sub_i32 s9, s9, s13
	s_add_i32 s14, s12, 1
	s_sub_i32 s13, s9, s0
	s_cmp_ge_u32 s9, s0
	s_cselect_b32 s12, s14, s12
	s_cselect_b32 s9, s13, s9
	s_add_i32 s13, s12, 1
	s_cmp_ge_u32 s9, s0
	s_cselect_b32 s0, s13, s12
	s_xor_b32 s0, s0, s1
	s_sub_i32 s0, s0, s1
	.loc	1 34 18                         ; fp8_utils_aot.py:34:18
	s_abs_i32 s1, s0
	v_cvt_f32_u32_e32 v1, s1
	s_sub_i32 s14, 0, s1
	s_abs_i32 s12, s16
	s_xor_b32 s13, s16, s0
	v_rcp_iflag_f32_e32 v1, v1
	s_ashr_i32 s13, s13, 31
	.loc	1 62 22                         ; fp8_utils_aot.py:62:22
	v_readfirstlane_b32 s9, v0
	.loc	1 34 18                         ; fp8_utils_aot.py:34:18
	v_mul_f32_e32 v1, 0x4f7ffffe, v1
	v_cvt_u32_f32_e32 v1, v1
	s_nop 0
	v_readfirstlane_b32 s15, v1
	s_mul_i32 s14, s14, s15
	s_mul_hi_u32 s14, s15, s14
	s_add_i32 s15, s15, s14
	s_mul_hi_u32 s14, s12, s15
	s_mul_i32 s15, s14, s1
	s_sub_i32 s12, s12, s15
	s_add_i32 s17, s14, 1
	s_sub_i32 s15, s12, s1
	s_cmp_ge_u32 s12, s1
	s_cselect_b32 s14, s17, s14
	s_cselect_b32 s12, s15, s12
	s_add_i32 s15, s14, 1
	s_cmp_ge_u32 s12, s1
	s_cselect_b32 s1, s15, s14
	s_xor_b32 s1, s1, s13
	s_sub_i32 s12, s1, s13
	.loc	1 35 22                         ; fp8_utils_aot.py:35:22
	s_mul_i32 s13, s12, s0
	.loc	1 38 39                         ; fp8_utils_aot.py:38:39
	s_mul_hi_i32 s1, s12, s10
	s_mul_i32 s0, s12, s10
	.loc	1 35 22                         ; fp8_utils_aot.py:35:22
	s_sub_i32 s10, s16, s13
	.loc	1 41 13                         ; fp8_utils_aot.py:41:13
	s_lshl_b64 s[0:1], s[0:1], 1
	.loc	1 39 32                         ; fp8_utils_aot.py:39:32
	s_mul_hi_i32 s13, s10, s8
	s_mul_i32 s12, s10, s8
	.loc	1 41 13                         ; fp8_utils_aot.py:41:13
	s_add_u32 s2, s2, s0
	s_addc_u32 s3, s3, s1
	s_lshl_b64 s[0:1], s[12:13], 1
	s_add_u32 s12, s2, s0
	.loc	1 47 24                         ; fp8_utils_aot.py:47:24
	v_and_b32_e32 v1, 63, v0
	.loc	1 41 13                         ; fp8_utils_aot.py:41:13
	s_addc_u32 s0, s3, s1
	.loc	1 47 24                         ; fp8_utils_aot.py:47:24
	v_and_or_b32 v2, s9, 64, v1
	.loc	1 50 16                         ; fp8_utils_aot.py:50:16
	s_and_b32 s13, s0, 0xffff
	v_lshlrev_b32_e32 v3, 1, v2
	.loc	1 48 18                         ; fp8_utils_aot.py:48:18
	v_cmp_gt_i32_e64 s[0:1], s8, v2
	s_mov_b32 s15, 0x27000
	s_mov_b32 s14, 0x7ffffffe
	.loc	1 50 16                         ; fp8_utils_aot.py:50:16
	v_cndmask_b32_e64 v3, v4, v3, s[0:1]
	buffer_load_ushort v3, v3, s[12:15], 0 offen
.Ltmp2:
	.file	2 "/root/.local/lib/python3.13/site-packages/triton/language" "standard.py"
	.loc	2 191 40                        ; standard.py:191:40 @[ fp8_utils_aot.py:56:32 ]
	s_and_b32 s10, s9, 0x80
	v_or_b32_e32 v4, s10, v1
	v_cmp_eq_u32_e32 vcc, 0, v4
.Ltmp3:
	.loc	1 50 55                         ; fp8_utils_aot.py:50:55
	s_waitcnt vmcnt(0)
	v_cvt_f32_f16_e32 v3, v3
	.loc	1 56 39                         ; fp8_utils_aot.py:56:39
	v_and_b32_e32 v5, 0x7fffffff, v3
.Ltmp4:
	.loc	2 191 40                        ; standard.py:191:40 @[ fp8_utils_aot.py:56:32 ]
	s_nop 1
	v_mov_b32_dpp v5, v5 row_shr:8 row_mask:0xf bank_mask:0xf bound_ctrl:1
.Ltmp5:
	.loc	2 170 27                        ; standard.py:170:27 @[ standard.py:191:40 @[ fp8_utils_aot.py:56:32 ] ]
	v_max_f32_e32 v5, v5, v5
	v_max_f32_e64 v5, |v3|, v5
.Ltmp6:
	.loc	2 191 40                        ; standard.py:191:40 @[ fp8_utils_aot.py:56:32 ]
	s_nop 1
	v_mov_b32_dpp v6, v5 row_shr:4 row_mask:0xf bank_mask:0xf bound_ctrl:1
.Ltmp7:
	.loc	2 170 27                        ; standard.py:170:27 @[ standard.py:191:40 @[ fp8_utils_aot.py:56:32 ] ]
	v_max_f32_e32 v6, v6, v6
	v_max_f32_e32 v5, v5, v6
.Ltmp8:
	.loc	2 191 40                        ; standard.py:191:40 @[ fp8_utils_aot.py:56:32 ]
	s_nop 1
	v_mov_b32_dpp v6, v5 row_shr:2 row_mask:0xf bank_mask:0xf bound_ctrl:1
.Ltmp9:
	.loc	2 170 27                        ; standard.py:170:27 @[ standard.py:191:40 @[ fp8_utils_aot.py:56:32 ] ]
	v_max_f32_e32 v6, v6, v6
	v_max_f32_e32 v5, v5, v6
.Ltmp10:
	.loc	2 191 40                        ; standard.py:191:40 @[ fp8_utils_aot.py:56:32 ]
	s_nop 1
	v_mov_b32_dpp v6, v5 row_shr:1 row_mask:0xf bank_mask:0xf bound_ctrl:1
.Ltmp11:
	.loc	2 170 27                        ; standard.py:170:27 @[ standard.py:191:40 @[ fp8_utils_aot.py:56:32 ] ]
	v_max_f32_e32 v6, v6, v6
	v_max_f32_e32 v5, v5, v6
.Ltmp12:
	.loc	2 191 40                        ; standard.py:191:40 @[ fp8_utils_aot.py:56:32 ]
	v_mov_b32_e32 v6, v5
	s_nop 1
	v_mov_b32_dpp v6, v6 row_bcast:15 row_mask:0xa bank_mask:0xf bound_ctrl:1
.Ltmp13:
	.loc	2 170 27                        ; standard.py:170:27 @[ standard.py:191:40 @[ fp8_utils_aot.py:56:32 ] ]
	v_max_f32_e32 v6, v6, v6
	v_max_f32_e32 v5, v5, v6
.Ltmp14:
	.loc	2 191 40                        ; standard.py:191:40 @[ fp8_utils_aot.py:56:32 ]
	s_nop 1
	v_mov_b32_dpp v6, v5 row_bcast:31 row_mask:0xf bank_mask:0xf bound_ctrl:1
.Ltmp15:
	.loc	2 170 27                        ; standard.py:170:27 @[ standard.py:191:40 @[ fp8_utils_aot.py:56:32 ] ]
	v_max_f32_e32 v6, v6, v6
	v_max_f32_e32 v5, v5, v6
.Ltmp16:
	.loc	2 191 40                        ; standard.py:191:40 @[ fp8_utils_aot.py:56:32 ]
	s_nop 0
	v_readlane_b32 s12, v5, 63
	s_and_saveexec_b64 s[2:3], vcc
	s_cbranch_execz .LBB0_2
; %bb.1:
	.loc	2 0 40 is_stmt 0                ; standard.py:0:40
	s_lshr_b32 s13, s9, 4
	s_and_b32 s13, s13, 4
	s_add_i32 s13, s13, 0
	.loc	2 191 40                        ; standard.py:191:40 @[ fp8_utils_aot.py:56:32 ]
	v_mov_b32_e32 v4, s13
	v_mov_b32_e32 v5, s12
	ds_write_b32 v4, v5
.LBB0_2:
	.loc	2 0 40                          ; standard.py:0:40
	s_or_b64 exec, exec, s[2:3]
	.loc	2 191 40                        ; standard.py:191:40 @[ fp8_utils_aot.py:56:32 ]
	v_cmp_gt_u32_e32 vcc, 2, v0
	v_lshl_add_u32 v4, v0, 2, 0
.Ltmp17:
	.loc	1 56 32 is_stmt 1               ; fp8_utils_aot.py:56:32
	v_mov_b32_e32 v5, 0
.Ltmp18:
	.loc	2 191 40                        ; standard.py:191:40 @[ fp8_utils_aot.py:56:32 ]
	s_waitcnt lgkmcnt(0)
	s_barrier
	s_and_saveexec_b64 s[2:3], vcc
; %bb.3:
	ds_read_b32 v5, v4
; %bb.4:
	.loc	2 0 40 is_stmt 0                ; standard.py:0:40
	s_or_b64 exec, exec, s[2:3]
	.loc	2 191 40                        ; standard.py:191:40 @[ fp8_utils_aot.py:56:32 ]
	v_and_b32_e32 v0, 1, v0
	s_waitcnt lgkmcnt(0)
	v_mov_b32_e32 v6, v5
	v_cmp_eq_u32_e64 s[2:3], 0, v0
	s_and_b64 s[12:13], vcc, s[2:3]
	v_mov_b32_dpp v6, v6 quad_perm:[1,0,3,2] row_mask:0xf bank_mask:0xf
	s_and_saveexec_b64 s[2:3], s[12:13]
; %bb.5:
	.loc	2 0 40                          ; standard.py:0:40
	v_max_f32_e32 v0, v6, v6
	v_max_f32_e32 v5, v5, v5
	;; [unrolled: 1-line block ×3, first 2 shown]
	.loc	2 191 40                        ; standard.py:191:40 @[ fp8_utils_aot.py:56:32 ]
	ds_write_b32 v4, v0
; %bb.6:
	.loc	2 0 40                          ; standard.py:0:40
	s_or_b64 exec, exec, s[2:3]
	.loc	2 191 40                        ; standard.py:191:40 @[ fp8_utils_aot.py:56:32 ]
	v_mov_b32_e32 v0, 0
	s_waitcnt lgkmcnt(0)
	s_barrier
	ds_read_b32 v4, v0
.Ltmp19:
	.loc	1 56 44 is_stmt 1               ; fp8_utils_aot.py:56:44
	v_max_f32_e64 v5, s11, s11
	.loc	1 62 22                         ; fp8_utils_aot.py:62:22
	s_lshr_b32 s12, s9, 6
	.loc	1 43 41                         ; fp8_utils_aot.py:43:41
	s_mul_hi_i32 s9, s8, s16
	s_mul_i32 s8, s8, s16
	.loc	1 56 44                         ; fp8_utils_aot.py:56:44
	s_waitcnt lgkmcnt(0)
	v_max_f32_e32 v4, v4, v4
	v_max_f32_e32 v4, v4, v5
	.loc	1 57 27                         ; fp8_utils_aot.py:57:27
	v_mul_f32_e32 v4, 0x3b124925, v4
	.loc	1 59 23                         ; fp8_utils_aot.py:59:23
	v_div_scale_f32 v5, s[2:3], v4, v4, v3
	v_rcp_f32_e32 v6, v5
	.loc	1 44 15                         ; fp8_utils_aot.py:44:15
	s_add_u32 s8, s4, s8
	s_addc_u32 s4, s5, s9
.Ltmp20:
	.loc	2 191 40                        ; standard.py:191:40 @[ fp8_utils_aot.py:56:32 ]
	s_cmp_eq_u32 s10, 0
.Ltmp21:
	.loc	1 59 23                         ; fp8_utils_aot.py:59:23
	v_fma_f32 v7, -v5, v6, 1.0
	v_fmac_f32_e32 v6, v7, v6
	v_div_scale_f32 v7, vcc, v3, v4, v3
	v_mul_f32_e32 v8, v7, v6
	v_fma_f32 v9, -v5, v8, v7
	v_fmac_f32_e32 v8, v9, v6
	v_fma_f32 v5, -v5, v8, v7
	v_div_fmas_f32 v5, v5, v6, v8
	v_div_fixup_f32 v3, v5, v4, v3
	s_mov_b32 s5, 0xc3e00000
	.loc	1 59 37 is_stmt 0               ; fp8_utils_aot.py:59:37
	v_mov_b32_e32 v5, 0x43e00000
.Ltmp22:
	.loc	2 191 40 is_stmt 1              ; standard.py:191:40 @[ fp8_utils_aot.py:56:32 ]
	s_cselect_b64 s[2:3], -1, 0
.Ltmp23:
	.loc	1 59 37                         ; fp8_utils_aot.py:59:37
	v_med3_f32 v3, v3, s5, v5
	.loc	1 59 49 is_stmt 0               ; fp8_utils_aot.py:59:49
	v_cvt_scalef32_pk_fp8_f32 v3, v3, s0, 1.0
	.loc	1 61 29 is_stmt 1               ; fp8_utils_aot.py:61:29
	v_bfrev_b32_e32 v5, 1
	s_and_b64 vcc, s[2:3], s[0:1]
	.loc	1 62 22                         ; fp8_utils_aot.py:62:22
	v_or_b32_e32 v1, s12, v1
	.loc	1 59 49                         ; fp8_utils_aot.py:59:49
	v_cvt_scalef32_pk_fp8_f32 v3, s0, v0, 1.0 op_sel:[0,0,0,1]
	.loc	1 61 29                         ; fp8_utils_aot.py:61:29
	s_and_b32 s9, s4, 0xffff
	s_mov_b32 s11, 0x27000
	s_mov_b32 s10, 0x7ffffffe
	v_cndmask_b32_e32 v2, v5, v2, vcc
	.loc	1 62 22                         ; fp8_utils_aot.py:62:22
	v_cmp_eq_u32_e32 vcc, 0, v1
	.loc	1 61 29                         ; fp8_utils_aot.py:61:29
	buffer_store_byte v3, v2, s[8:11], 0 offen
	.loc	1 62 22                         ; fp8_utils_aot.py:62:22
	s_and_saveexec_b64 s[0:1], vcc
	s_cbranch_execz .LBB0_8
; %bb.7:
	.loc	1 0 22 is_stmt 0                ; fp8_utils_aot.py:0:22
	s_ashr_i32 s17, s16, 31
	.loc	1 45 15 is_stmt 1               ; fp8_utils_aot.py:45:15
	s_lshl_b64 s[0:1], s[16:17], 2
	s_add_u32 s0, s6, s0
	s_addc_u32 s1, s7, s1
	.loc	1 62 22                         ; fp8_utils_aot.py:62:22
	global_store_dword v0, v4, s[0:1]
.LBB0_8:
	.loc	1 62 4 is_stmt 0                ; fp8_utils_aot.py:62:4
	s_endpgm
.Ltmp24:
	.section	.rodata,"a",@progbits
	.p2align	6, 0x0
	.amdhsa_kernel _per_token_group_quant_fp8
		.amdhsa_group_segment_fixed_size 0
		.amdhsa_private_segment_fixed_size 0
		.amdhsa_kernarg_size 56
		.amdhsa_user_sgpr_count 16
		.amdhsa_user_sgpr_dispatch_ptr 0
		.amdhsa_user_sgpr_queue_ptr 0
		.amdhsa_user_sgpr_kernarg_segment_ptr 1
		.amdhsa_user_sgpr_dispatch_id 0
		.amdhsa_user_sgpr_kernarg_preload_length 14
		.amdhsa_user_sgpr_kernarg_preload_offset 0
		.amdhsa_user_sgpr_private_segment_size 0
		.amdhsa_uses_dynamic_stack 0
		.amdhsa_enable_private_segment 0
		.amdhsa_system_sgpr_workgroup_id_x 1
		.amdhsa_system_sgpr_workgroup_id_y 0
		.amdhsa_system_sgpr_workgroup_id_z 0
		.amdhsa_system_sgpr_workgroup_info 0
		.amdhsa_system_vgpr_workitem_id 0
		.amdhsa_next_free_vgpr 10
		.amdhsa_next_free_sgpr 18
		.amdhsa_accum_offset 12
		.amdhsa_reserve_vcc 1
		.amdhsa_reserve_xnack_mask 1
		.amdhsa_float_round_mode_32 0
		.amdhsa_float_round_mode_16_64 0
		.amdhsa_float_denorm_mode_32 3
		.amdhsa_float_denorm_mode_16_64 3
		.amdhsa_dx10_clamp 1
		.amdhsa_ieee_mode 1
		.amdhsa_fp16_overflow 0
		.amdhsa_tg_split 0
		.amdhsa_exception_fp_ieee_invalid_op 0
		.amdhsa_exception_fp_denorm_src 0
		.amdhsa_exception_fp_ieee_div_zero 0
		.amdhsa_exception_fp_ieee_overflow 0
		.amdhsa_exception_fp_ieee_underflow 0
		.amdhsa_exception_fp_ieee_inexact 0
		.amdhsa_exception_int_div_zero 0
	.end_amdhsa_kernel
	.text
.Lfunc_end0:
	.size	_per_token_group_quant_fp8, .Lfunc_end0-_per_token_group_quant_fp8
	.cfi_endproc
                                        ; -- End function
	.set _per_token_group_quant_fp8.num_vgpr, 10
	.set _per_token_group_quant_fp8.num_agpr, 0
	.set _per_token_group_quant_fp8.numbered_sgpr, 18
	.set _per_token_group_quant_fp8.num_named_barrier, 0
	.set _per_token_group_quant_fp8.private_seg_size, 0
	.set _per_token_group_quant_fp8.uses_vcc, 1
	.set _per_token_group_quant_fp8.uses_flat_scratch, 0
	.set _per_token_group_quant_fp8.has_dyn_sized_stack, 0
	.set _per_token_group_quant_fp8.has_recursion, 0
	.set _per_token_group_quant_fp8.has_indirect_call, 0
	.section	.AMDGPU.csdata,"",@progbits
; Kernel info:
; codeLenInByte = 1196
; TotalNumSgprs: 24
; NumVgprs: 10
; NumAgprs: 0
; TotalNumVgprs: 10
; ScratchSize: 0
; MemoryBound: 0
; FloatMode: 240
; IeeeMode: 1
; LDSByteSize: 0 bytes/workgroup (compile time only)
; SGPRBlocks: 2
; VGPRBlocks: 1
; NumSGPRsForWavesPerEU: 24
; NumVGPRsForWavesPerEU: 10
; AccumOffset: 12
; Occupancy: 8
; WaveLimiterHint : 0
; COMPUTE_PGM_RSRC2:SCRATCH_EN: 0
; COMPUTE_PGM_RSRC2:USER_SGPR: 16
; COMPUTE_PGM_RSRC2:TRAP_HANDLER: 0
; COMPUTE_PGM_RSRC2:TGID_X_EN: 1
; COMPUTE_PGM_RSRC2:TGID_Y_EN: 0
; COMPUTE_PGM_RSRC2:TGID_Z_EN: 0
; COMPUTE_PGM_RSRC2:TIDIG_COMP_CNT: 0
; COMPUTE_PGM_RSRC3_GFX90A:ACCUM_OFFSET: 2
; COMPUTE_PGM_RSRC3_GFX90A:TG_SPLIT: 0
	.text
	.p2alignl 6, 3212836864
	.fill 256, 4, 3212836864
	.section	.AMDGPU.gpr_maximums,"",@progbits
	.set amdgpu.max_num_vgpr, 0
	.set amdgpu.max_num_agpr, 0
	.set amdgpu.max_num_sgpr, 0
	.set amdgpu.max_num_named_barrier, 0
	.text
	.section	.debug_abbrev,"",@progbits
	.byte	1                               ; Abbreviation Code
	.byte	17                              ; DW_TAG_compile_unit
	.byte	1                               ; DW_CHILDREN_yes
	.byte	37                              ; DW_AT_producer
	.byte	14                              ; DW_FORM_strp
	.byte	19                              ; DW_AT_language
	.byte	5                               ; DW_FORM_data2
	.byte	3                               ; DW_AT_name
	.byte	14                              ; DW_FORM_strp
	.byte	16                              ; DW_AT_stmt_list
	.byte	23                              ; DW_FORM_sec_offset
	.byte	27                              ; DW_AT_comp_dir
	.byte	14                              ; DW_FORM_strp
	.byte	17                              ; DW_AT_low_pc
	.byte	1                               ; DW_FORM_addr
	.byte	18                              ; DW_AT_high_pc
	.byte	6                               ; DW_FORM_data4
	.byte	0                               ; EOM(1)
	.byte	0                               ; EOM(2)
	.byte	2                               ; Abbreviation Code
	.byte	46                              ; DW_TAG_subprogram
	.byte	0                               ; DW_CHILDREN_no
	.byte	3                               ; DW_AT_name
	.byte	14                              ; DW_FORM_strp
	.byte	32                              ; DW_AT_inline
	.byte	11                              ; DW_FORM_data1
	.byte	0                               ; EOM(1)
	.byte	0                               ; EOM(2)
	.byte	3                               ; Abbreviation Code
	.byte	46                              ; DW_TAG_subprogram
	.byte	1                               ; DW_CHILDREN_yes
	.byte	17                              ; DW_AT_low_pc
	.byte	1                               ; DW_FORM_addr
	.byte	18                              ; DW_AT_high_pc
	.byte	6                               ; DW_FORM_data4
	.byte	49                              ; DW_AT_abstract_origin
	.byte	19                              ; DW_FORM_ref4
	.byte	0                               ; EOM(1)
	.byte	0                               ; EOM(2)
	.byte	4                               ; Abbreviation Code
	.byte	29                              ; DW_TAG_inlined_subroutine
	.byte	1                               ; DW_CHILDREN_yes
	.byte	49                              ; DW_AT_abstract_origin
	.byte	19                              ; DW_FORM_ref4
	.byte	85                              ; DW_AT_ranges
	.byte	23                              ; DW_FORM_sec_offset
	.byte	88                              ; DW_AT_call_file
	.byte	11                              ; DW_FORM_data1
	.byte	89                              ; DW_AT_call_line
	.byte	11                              ; DW_FORM_data1
	.byte	87                              ; DW_AT_call_column
	.byte	11                              ; DW_FORM_data1
	.byte	0                               ; EOM(1)
	.byte	0                               ; EOM(2)
	.byte	5                               ; Abbreviation Code
	.byte	29                              ; DW_TAG_inlined_subroutine
	.byte	0                               ; DW_CHILDREN_no
	.byte	49                              ; DW_AT_abstract_origin
	.byte	19                              ; DW_FORM_ref4
	.byte	85                              ; DW_AT_ranges
	.byte	23                              ; DW_FORM_sec_offset
	.byte	88                              ; DW_AT_call_file
	.byte	11                              ; DW_FORM_data1
	.byte	89                              ; DW_AT_call_line
	.byte	11                              ; DW_FORM_data1
	.byte	87                              ; DW_AT_call_column
	.byte	11                              ; DW_FORM_data1
	.byte	0                               ; EOM(1)
	.byte	0                               ; EOM(2)
	;; [unrolled: 1-line block ×3, first 2 shown]
	.section	.debug_info,"",@progbits
.Lcu_begin0:
	.long	.Ldebug_info_end0-.Ldebug_info_start0 ; Length of Unit
.Ldebug_info_start0:
	.short	4                               ; DWARF version number
	.long	.debug_abbrev                   ; Offset Into Abbrev. Section
	.byte	8                               ; Address Size (in bytes)
	.byte	1                               ; Abbrev [1] 0xb:0x51 DW_TAG_compile_unit
	.long	.Linfo_string0                  ; DW_AT_producer
	.short	2                               ; DW_AT_language
	.long	.Linfo_string1                  ; DW_AT_name
	.long	.Lline_table_start0             ; DW_AT_stmt_list
	.long	.Linfo_string2                  ; DW_AT_comp_dir
	.quad	.Lfunc_begin0                   ; DW_AT_low_pc
	.long	.Lfunc_end0-.Lfunc_begin0       ; DW_AT_high_pc
	.byte	2                               ; Abbrev [2] 0x2a:0x6 DW_TAG_subprogram
	.long	.Linfo_string3                  ; DW_AT_name
	.byte	1                               ; DW_AT_inline
	.byte	3                               ; Abbrev [3] 0x30:0x2b DW_TAG_subprogram
	.quad	.Lfunc_begin0                   ; DW_AT_low_pc
	.long	.Lfunc_end0-.Lfunc_begin0       ; DW_AT_high_pc
	.long	42                              ; DW_AT_abstract_origin
	.byte	4                               ; Abbrev [4] 0x41:0x19 DW_TAG_inlined_subroutine
	.long	42                              ; DW_AT_abstract_origin
	.long	.Ldebug_ranges0                 ; DW_AT_ranges
	.byte	1                               ; DW_AT_call_file
	.byte	56                              ; DW_AT_call_line
	.byte	32                              ; DW_AT_call_column
	.byte	5                               ; Abbrev [5] 0x4d:0xc DW_TAG_inlined_subroutine
	.long	42                              ; DW_AT_abstract_origin
	.long	.Ldebug_ranges1                 ; DW_AT_ranges
	.byte	2                               ; DW_AT_call_file
	.byte	191                             ; DW_AT_call_line
	.byte	40                              ; DW_AT_call_column
	.byte	0                               ; End Of Children Mark
	.byte	0                               ; End Of Children Mark
	;; [unrolled: 1-line block ×3, first 2 shown]
.Ldebug_info_end0:
	.section	.debug_ranges,"",@progbits
.Ldebug_ranges0:
	.quad	.Ltmp2-.Lfunc_begin0
	.quad	.Ltmp3-.Lfunc_begin0
	;; [unrolled: 1-line block ×10, first 2 shown]
	.quad	0
	.quad	0
.Ldebug_ranges1:
	.quad	.Ltmp5-.Lfunc_begin0
	.quad	.Ltmp6-.Lfunc_begin0
	;; [unrolled: 1-line block ×12, first 2 shown]
	.quad	0
	.quad	0
	.section	.debug_str,"MS",@progbits,1
.Linfo_string0:
	.asciz	"triton"                        ; string offset=0
.Linfo_string1:
	.asciz	"fp8_utils_aot.py"              ; string offset=7
.Linfo_string2:
	.asciz	"/root/src/amdgpu-assembly/repos/vllm-project__vllm/triton_aot_kernels" ; string offset=24
.Linfo_string3:
	.asciz	"_per_token_group_quant_fp8"    ; string offset=94
	.section	".note.GNU-stack","",@progbits
	.amdgpu_metadata
---
amdhsa.kernels:
  - .agpr_count:     0
    .args:
      - .address_space:  global
        .offset:         0
        .size:           8
        .value_kind:     global_buffer
      - .address_space:  global
        .offset:         8
        .size:           8
        .value_kind:     global_buffer
      - .address_space:  global
        .offset:         16
        .size:           8
        .value_kind:     global_buffer
      - .offset:         24
        .size:           4
        .value_kind:     by_value
      - .offset:         28
        .size:           4
        .value_kind:     by_value
      - .offset:         32
        .size:           4
        .value_kind:     by_value
      - .offset:         36
        .size:           4
        .value_kind:     by_value
      - .address_space:  global
        .offset:         40
        .size:           8
        .value_kind:     global_buffer
      - .address_space:  global
        .offset:         48
        .size:           8
        .value_kind:     global_buffer
    .group_segment_fixed_size: 0
    .kernarg_segment_align: 8
    .kernarg_segment_size: 56
    .max_flat_workgroup_size: 256
    .name:           _per_token_group_quant_fp8
    .private_segment_fixed_size: 0
    .sgpr_count:     24
    .sgpr_spill_count: 0
    .symbol:         _per_token_group_quant_fp8.kd
    .uniform_work_group_size: 1
    .uses_dynamic_stack: false
    .vgpr_count:     10
    .vgpr_spill_count: 0
    .wavefront_size: 64
amdhsa.target:   amdgcn-amd-amdhsa--gfx950
amdhsa.version:
  - 1
  - 2
...

	.end_amdgpu_metadata
	.section	.debug_line,"",@progbits
.Lline_table_start0:
